;; amdgpu-corpus repo=zjin-lcf/HeCBench kind=compiled arch=gfx1250 opt=O3
	.amdgcn_target "amdgcn-amd-amdhsa--gfx1250"
	.amdhsa_code_object_version 6
	.text
	.protected	_Z2mdPK7box_strPK11FOUR_VECTORPKfPS2_fi ; -- Begin function _Z2mdPK7box_strPK11FOUR_VECTORPKfPS2_fi
	.globl	_Z2mdPK7box_strPK11FOUR_VECTORPKfPS2_fi
	.p2align	8
	.type	_Z2mdPK7box_strPK11FOUR_VECTORPKfPS2_fi,@function
_Z2mdPK7box_strPK11FOUR_VECTORPKfPS2_fi: ; @_Z2mdPK7box_strPK11FOUR_VECTORPKfPS2_fi
; %bb.0:
	s_load_b64 s[2:3], s[0:1], 0x20
	s_bfe_u32 s4, ttmp6, 0x4000c
	s_and_b32 s5, ttmp6, 15
	s_add_co_i32 s4, s4, 1
	s_getreg_b32 s6, hwreg(HW_REG_IB_STS2, 6, 4)
	s_mul_i32 s4, ttmp9, s4
	s_delay_alu instid0(SALU_CYCLE_1)
	s_add_co_i32 s5, s5, s4
	s_cmp_eq_u32 s6, 0
	s_cselect_b32 s6, ttmp9, s5
	s_wait_kmcnt 0x0
	s_cmp_ge_i32 s6, s3
	s_cbranch_scc1 .LBB0_14
; %bb.1:
	s_load_b256 s[8:15], s[0:1], 0x0
	s_ashr_i32 s7, s6, 31
	v_cmp_gt_u32_e32 vcc_lo, 0x64, v0
	s_wait_xcnt 0x0
	s_mul_u64 s[0:1], s[6:7], 0x290
	v_lshlrev_b32_e32 v1, 4, v0
	s_wait_kmcnt 0x0
	s_add_nc_u64 s[16:17], s[8:9], s[0:1]
	s_load_b32 s0, s[16:17], 0x10
	s_wait_kmcnt 0x0
	v_add_nc_u32_e32 v2, s0, v0
	s_and_saveexec_b32 s0, vcc_lo
	s_cbranch_execz .LBB0_3
; %bb.2:
	global_load_b128 v[4:7], v2, s[10:11] scale_offset
	s_wait_loadcnt 0x0
	ds_store_2addr_b32 v1, v6, v7 offset0:2 offset1:3
	ds_store_2addr_b32 v1, v4, v5 offset1:1
.LBB0_3:
	s_or_b32 exec_lo, exec_lo, s0
	s_wait_dscnt 0x0
	s_barrier_signal -1
	s_barrier_wait -1
	s_load_b32 s0, s[16:17], 0x18
	s_mov_b32 s19, 0
	s_wait_kmcnt 0x0
	s_cmp_lt_i32 s0, 0
	s_cbranch_scc1 .LBB0_14
; %bb.4:
	v_ashrrev_i32_e32 v3, 31, v2
	s_add_f32 s0, s2, s2
	v_add_nc_u32_e32 v15, 0x640, v1
	v_lshl_add_u32 v28, v0, 2, 0xc80
	s_mov_b32 s18, s19
	v_lshl_add_u64 v[10:11], v[2:3], 4, s[14:15]
	s_mul_f32 s5, s2, s0
	s_branch .LBB0_6
.LBB0_5:                                ;   in Loop: Header=BB0_6 Depth=1
	s_wait_xcnt 0x0
	s_or_b32 exec_lo, exec_lo, s7
	s_wait_storecnt 0x0
	s_barrier_signal -1
	s_barrier_wait -1
	s_wait_kmcnt 0x0
	s_load_b32 s0, s[16:17], 0x18
	s_add_co_i32 s1, s18, 1
	s_wait_kmcnt 0x0
	s_cmp_lt_i32 s18, s0
	s_mov_b32 s18, s1
	s_cbranch_scc0 .LBB0_14
.LBB0_6:                                ; =>This Loop Header: Depth=1
                                        ;     Child Loop BB0_12 Depth 2
	s_cmp_eq_u32 s18, 0
	s_mov_b32 s0, s6
	s_cbranch_scc1 .LBB0_8
; %bb.7:                                ;   in Loop: Header=BB0_6 Depth=1
	s_mul_u64 s[0:1], s[18:19], 24
	s_delay_alu instid0(SALU_CYCLE_1)
	s_add_nc_u64 s[0:1], s[16:17], s[0:1]
	s_load_b32 s0, s[0:1], 0x14
.LBB0_8:                                ;   in Loop: Header=BB0_6 Depth=1
	s_and_saveexec_b32 s2, vcc_lo
	s_cbranch_execz .LBB0_10
; %bb.9:                                ;   in Loop: Header=BB0_6 Depth=1
	s_wait_kmcnt 0x0
	s_ashr_i32 s1, s0, 31
	s_delay_alu instid0(SALU_CYCLE_1) | instskip(NEXT) | instid1(SALU_CYCLE_1)
	s_mul_u64 s[0:1], s[0:1], 0x290
	s_add_nc_u64 s[0:1], s[8:9], s[0:1]
	s_load_b32 s0, s[0:1], 0x10
	s_wait_kmcnt 0x0
	v_add_nc_u32_e32 v6, s0, v0
	s_clause 0x1
	global_load_b128 v[2:5], v6, s[10:11] scale_offset
	global_load_b32 v7, v6, s[12:13] scale_offset
	s_wait_loadcnt 0x1
	ds_store_2addr_b32 v15, v4, v5 offset0:2 offset1:3
	ds_store_2addr_b32 v15, v2, v3 offset1:1
	s_wait_loadcnt 0x0
	ds_store_b32 v28, v7
.LBB0_10:                               ;   in Loop: Header=BB0_6 Depth=1
	s_or_b32 exec_lo, exec_lo, s2
	s_wait_dscnt 0x0
	s_barrier_signal -1
	s_barrier_wait -1
	s_and_saveexec_b32 s7, vcc_lo
	s_cbranch_execz .LBB0_5
; %bb.11:                               ;   in Loop: Header=BB0_6 Depth=1
	global_load_b128 v[6:9], v[10:11], off
	ds_load_b128 v[2:5], v1
	s_mov_b32 s14, 0
	s_movk_i32 s15, 0xf9c0
	s_wait_dscnt 0x0
	v_dual_mov_b32 v12, v3 :: v_dual_mov_b32 v13, v4
.LBB0_12:                               ;   Parent Loop BB0_6 Depth=1
                                        ; =>  This Inner Loop Header: Depth=2
	v_dual_mov_b32 v14, s15 :: v_dual_mov_b32 v20, s14
	s_wait_kmcnt 0x0
	s_add_co_i32 s0, s14, 0xc80
	s_add_co_i32 s1, s14, 0xc88
	s_delay_alu instid0(SALU_CYCLE_1)
	v_dual_mov_b32 v16, s0 :: v_dual_mov_b32 v17, s1
	ds_load_b128 v[30:33], v14 offset:3200
	ds_load_b128 v[34:37], v14 offset:3216
	;; [unrolled: 1-line block ×4, first 2 shown]
	ds_load_2addr_b32 v[18:19], v16 offset1:1
	ds_load_b128 v[46:49], v14 offset:3264
	ds_load_2addr_b32 v[16:17], v17 offset1:1
	ds_load_b32 v14, v20 offset:3216
	s_add_co_i32 s14, s14, 20
	s_addk_co_i32 s15, 0x50
	s_cmp_lg_u32 s14, 0x190
	s_wait_dscnt 0x7
	v_dual_sub_f32 v29, v3, v31 :: v_dual_mov_b32 v25, v32
	v_dual_mov_b32 v24, v31 :: v_dual_mul_f32 v26, v12, v31
	v_pk_mul_f32 v[50:51], v[4:5], v[32:33]
	v_pk_add_f32 v[20:21], v[4:5], v[32:33] neg_lo:[0,1] neg_hi:[0,1]
	s_wait_dscnt 0x6
	v_dual_sub_f32 v56, v3, v35 :: v_dual_mov_b32 v33, v36
	v_dual_mov_b32 v32, v35 :: v_dual_mul_f32 v50, v12, v35
	v_pk_fma_f32 v[26:27], v[12:13], v[24:25], v[26:27] op_sel_hi:[1,1,0]
	v_pk_mul_f32 v[52:53], v[4:5], v[36:37]
	v_dual_mov_b32 v31, v51 :: v_dual_mov_b32 v26, v2
	s_delay_alu instid0(VALU_DEP_4)
	v_pk_fma_f32 v[32:33], v[12:13], v[32:33], v[50:51] op_sel_hi:[1,1,0]
	v_pk_add_f32 v[22:23], v[4:5], v[36:37] neg_lo:[0,1] neg_hi:[0,1]
	s_wait_dscnt 0x5
	v_dual_sub_f32 v57, v3, v39 :: v_dual_mov_b32 v37, v40
	v_dual_mov_b32 v36, v39 :: v_dual_mul_f32 v52, v12, v39
	v_pk_mul_f32 v[54:55], v[4:5], v[40:41]
	v_pk_add_f32 v[24:25], v[4:5], v[40:41] neg_lo:[0,1] neg_hi:[0,1]
	s_wait_dscnt 0x4
	v_dual_sub_f32 v58, v3, v43 :: v_dual_mov_b32 v41, v44
	v_pk_add_f32 v[30:31], v[26:27], v[30:31]
	v_pk_mul_f32 v[50:51], v[4:5], v[44:45]
	v_mov_b32_e32 v35, v53
	v_pk_add_f32 v[26:27], v[4:5], v[44:45] neg_lo:[0,1] neg_hi:[0,1]
	s_wait_dscnt 0x2
	v_dual_mov_b32 v44, v47 :: v_dual_mov_b32 v45, v48
	v_dual_mov_b32 v39, v55 :: v_dual_mul_f32 v32, v12, v47
	v_dual_mov_b32 v40, v43 :: v_dual_mul_f32 v54, v12, v43
	v_pk_fma_f32 v[36:37], v[12:13], v[36:37], v[52:53] op_sel_hi:[1,1,0]
	v_sub_f32_e32 v52, v3, v47
	v_mov_b32_e32 v43, v51
	v_pk_mul_f32 v[50:51], v[4:5], v[48:49]
	v_pk_fma_f32 v[44:45], v[12:13], v[44:45], v[32:33] op_sel_hi:[1,1,0]
	v_mov_b32_e32 v32, v2
	v_pk_fma_f32 v[40:41], v[12:13], v[40:41], v[54:55] op_sel_hi:[1,1,0]
	v_dual_mov_b32 v36, v2 :: v_dual_mov_b32 v40, v2
	v_dual_mov_b32 v47, v51 :: v_dual_mov_b32 v44, v2
	s_delay_alu instid0(VALU_DEP_4) | instskip(NEXT) | instid1(VALU_DEP_3)
	v_pk_add_f32 v[32:33], v[32:33], v[34:35]
	v_pk_add_f32 v[34:35], v[36:37], v[38:39]
	s_delay_alu instid0(VALU_DEP_4) | instskip(SKIP_2) | instid1(VALU_DEP_4)
	v_pk_add_f32 v[36:37], v[40:41], v[42:43]
	v_sub_f32_e32 v30, v30, v31
	v_pk_add_f32 v[38:39], v[44:45], v[46:47]
	v_dual_sub_f32 v31, v32, v33 :: v_dual_sub_f32 v32, v34, v35
	s_delay_alu instid0(VALU_DEP_3) | instskip(NEXT) | instid1(VALU_DEP_3)
	v_dual_sub_f32 v33, v36, v37 :: v_dual_mul_f32 v30, s5, -v30
	v_sub_f32_e32 v34, v38, v39
	s_delay_alu instid0(VALU_DEP_3) | instskip(NEXT) | instid1(VALU_DEP_3)
	v_dual_mul_f32 v31, s5, -v31 :: v_dual_mul_f32 v32, s5, -v32
	v_mul_f32_e64 v33, s5, -v33
	s_delay_alu instid0(VALU_DEP_4) | instskip(NEXT) | instid1(VALU_DEP_4)
	v_mul_f32_e32 v35, 0x3fb8aa3b, v30
	v_mul_f32_e64 v34, s5, -v34
	s_delay_alu instid0(VALU_DEP_4) | instskip(NEXT) | instid1(VALU_DEP_4)
	v_dual_mul_f32 v36, 0x3fb8aa3b, v31 :: v_dual_mul_f32 v37, 0x3fb8aa3b, v32
	v_mul_f32_e32 v38, 0x3fb8aa3b, v33
	s_delay_alu instid0(VALU_DEP_4) | instskip(SKIP_1) | instid1(VALU_DEP_4)
	v_fma_f32 v40, 0x3fb8aa3b, v30, -v35
	v_rndne_f32_e32 v41, v35
	v_fma_f32 v42, 0x3fb8aa3b, v31, -v36
	v_rndne_f32_e32 v43, v36
	v_mul_f32_e32 v39, 0x3fb8aa3b, v34
	v_rndne_f32_e32 v45, v37
	v_fma_f32 v46, 0x3fb8aa3b, v33, -v38
	v_rndne_f32_e32 v47, v38
	v_dual_fmac_f32 v40, 0x32a5705f, v30 :: v_dual_sub_f32 v35, v35, v41
	v_fmac_f32_e32 v42, 0x32a5705f, v31
	v_sub_f32_e32 v36, v36, v43
	v_fma_f32 v44, 0x3fb8aa3b, v32, -v37
	v_sub_f32_e32 v37, v37, v45
	v_dual_fmac_f32 v46, 0x32a5705f, v33 :: v_dual_add_f32 v35, v35, v40
	s_delay_alu instid0(VALU_DEP_4) | instskip(SKIP_2) | instid1(VALU_DEP_4)
	v_dual_sub_f32 v38, v38, v47 :: v_dual_add_f32 v36, v36, v42
	v_fma_f32 v50, 0x3fb8aa3b, v34, -v39
	v_rndne_f32_e32 v51, v39
	v_exp_f32_e32 v35, v35
	v_cvt_i32_f32_e32 v41, v41
	v_exp_f32_e32 v36, v36
	v_cvt_i32_f32_e32 v43, v43
	v_dual_fmac_f32 v44, 0x32a5705f, v32 :: v_dual_sub_f32 v39, v39, v51
	v_fmac_f32_e32 v50, 0x32a5705f, v34
	s_delay_alu instid0(TRANS32_DEP_2) | instskip(SKIP_1) | instid1(VALU_DEP_4)
	v_ldexp_f32 v35, v35, v41
	v_cmp_ngt_f32_e64 s0, 0xc2ce8ed0, v30
	v_dual_add_f32 v37, v37, v44 :: v_dual_add_f32 v38, v38, v46
	v_ldexp_f32 v36, v36, v43
	v_cmp_ngt_f32_e64 s1, 0xc2ce8ed0, v31
	v_add_f32_e32 v39, v39, v50
	s_delay_alu instid0(VALU_DEP_4)
	v_exp_f32_e32 v37, v37
	v_cndmask_b32_e64 v35, 0, v35, s0
	v_exp_f32_e32 v38, v38
	v_cndmask_b32_e64 v36, 0, v36, s1
	v_exp_f32_e32 v39, v39
	v_cvt_i32_f32_e32 v45, v45
	v_cvt_i32_f32_e32 v47, v47
	;; [unrolled: 1-line block ×3, first 2 shown]
	v_cmp_nlt_f32_e64 s0, 0x42b17218, v30
	v_cmp_ngt_f32_e64 s2, 0xc2ce8ed0, v32
	v_ldexp_f32 v37, v37, v45
	v_ldexp_f32 v38, v38, v47
	v_cmp_ngt_f32_e64 s3, 0xc2ce8ed0, v33
	v_ldexp_f32 v39, v39, v51
	v_cmp_ngt_f32_e64 s4, 0xc2ce8ed0, v34
	v_cmp_nlt_f32_e64 s1, 0x42b17218, v31
	v_cndmask_b32_e64 v30, 0x7f800000, v35, s0
	v_dual_cndmask_b32 v31, 0, v37, s2 :: v_dual_cndmask_b32 v37, 0, v38, s3
	v_cmp_nlt_f32_e64 s2, 0x42b17218, v32
	v_cmp_nlt_f32_e64 s3, 0x42b17218, v33
	s_delay_alu instid0(VALU_DEP_4) | instskip(SKIP_4) | instid1(VALU_DEP_4)
	v_dual_cndmask_b32 v33, 0, v39, s4 :: v_dual_add_f32 v38, v30, v30
	v_cndmask_b32_e64 v32, 0x7f800000, v36, s1
	v_cmp_nlt_f32_e64 s4, 0x42b17218, v34
	v_cndmask_b32_e64 v34, 0x7f800000, v31, s2
	v_cndmask_b32_e64 v36, 0x7f800000, v37, s3
	v_dual_mul_f32 v31, v29, v38 :: v_dual_add_f32 v42, v32, v32
	v_pk_mul_f32 v[20:21], v[20:21], v[38:39] op_sel_hi:[1,0]
	v_cndmask_b32_e64 v40, 0x7f800000, v33, s4
	v_add_f32_e32 v38, v34, v34
	s_wait_loadcnt 0x0
	v_pk_fma_f32 v[6:7], v[18:19], v[30:31], v[6:7] op_sel_hi:[0,1,1]
	v_pk_mul_f32 v[22:23], v[22:23], v[42:43] op_sel_hi:[1,0]
	v_pk_fma_f32 v[8:9], v[18:19], v[20:21], v[8:9] op_sel_hi:[0,1,1]
	v_add_f32_e32 v20, v36, v36
	v_mul_f32_e32 v33, v56, v42
	v_mul_f32_e32 v35, v57, v38
	v_pk_mul_f32 v[24:25], v[24:25], v[38:39] op_sel_hi:[1,0]
	v_pk_fma_f32 v[8:9], v[18:19], v[22:23], v[8:9] op_sel:[1,0,0]
	v_mul_f32_e32 v37, v58, v20
	v_pk_fma_f32 v[6:7], v[18:19], v[32:33], v[6:7] op_sel:[1,0,0]
	v_pk_add_f32 v[48:49], v[4:5], v[48:49] neg_lo:[0,1] neg_hi:[0,1]
	v_add_f32_e32 v18, v40, v40
	v_pk_mul_f32 v[20:21], v[26:27], v[20:21] op_sel_hi:[1,0]
	s_wait_dscnt 0x1
	v_pk_fma_f32 v[8:9], v[16:17], v[24:25], v[8:9] op_sel_hi:[0,1,1]
	v_pk_fma_f32 v[6:7], v[16:17], v[34:35], v[6:7] op_sel_hi:[0,1,1]
	v_mul_f32_e32 v41, v52, v18
	v_pk_mul_f32 v[18:19], v[48:49], v[18:19] op_sel_hi:[1,0]
	s_delay_alu instid0(VALU_DEP_4) | instskip(NEXT) | instid1(VALU_DEP_4)
	v_pk_fma_f32 v[8:9], v[16:17], v[20:21], v[8:9] op_sel:[1,0,0]
	v_pk_fma_f32 v[6:7], v[16:17], v[36:37], v[6:7] op_sel:[1,0,0]
	s_wait_dscnt 0x0
	s_delay_alu instid0(VALU_DEP_2) | instskip(NEXT) | instid1(VALU_DEP_2)
	v_pk_fma_f32 v[8:9], v[14:15], v[18:19], v[8:9] op_sel_hi:[0,1,1]
	v_pk_fma_f32 v[6:7], v[14:15], v[40:41], v[6:7] op_sel_hi:[0,1,1]
	s_cbranch_scc1 .LBB0_12
; %bb.13:                               ;   in Loop: Header=BB0_6 Depth=1
	global_store_b128 v[10:11], v[6:9], off
	s_branch .LBB0_5
.LBB0_14:
	s_endpgm
	.section	.rodata,"a",@progbits
	.p2align	6, 0x0
	.amdhsa_kernel _Z2mdPK7box_strPK11FOUR_VECTORPKfPS2_fi
		.amdhsa_group_segment_fixed_size 3600
		.amdhsa_private_segment_fixed_size 0
		.amdhsa_kernarg_size 40
		.amdhsa_user_sgpr_count 2
		.amdhsa_user_sgpr_dispatch_ptr 0
		.amdhsa_user_sgpr_queue_ptr 0
		.amdhsa_user_sgpr_kernarg_segment_ptr 1
		.amdhsa_user_sgpr_dispatch_id 0
		.amdhsa_user_sgpr_kernarg_preload_length 0
		.amdhsa_user_sgpr_kernarg_preload_offset 0
		.amdhsa_user_sgpr_private_segment_size 0
		.amdhsa_wavefront_size32 1
		.amdhsa_uses_dynamic_stack 0
		.amdhsa_enable_private_segment 0
		.amdhsa_system_sgpr_workgroup_id_x 1
		.amdhsa_system_sgpr_workgroup_id_y 0
		.amdhsa_system_sgpr_workgroup_id_z 0
		.amdhsa_system_sgpr_workgroup_info 0
		.amdhsa_system_vgpr_workitem_id 0
		.amdhsa_next_free_vgpr 59
		.amdhsa_next_free_sgpr 20
		.amdhsa_named_barrier_count 0
		.amdhsa_reserve_vcc 1
		.amdhsa_float_round_mode_32 0
		.amdhsa_float_round_mode_16_64 0
		.amdhsa_float_denorm_mode_32 3
		.amdhsa_float_denorm_mode_16_64 3
		.amdhsa_fp16_overflow 0
		.amdhsa_memory_ordered 1
		.amdhsa_forward_progress 1
		.amdhsa_inst_pref_size 14
		.amdhsa_round_robin_scheduling 0
		.amdhsa_exception_fp_ieee_invalid_op 0
		.amdhsa_exception_fp_denorm_src 0
		.amdhsa_exception_fp_ieee_div_zero 0
		.amdhsa_exception_fp_ieee_overflow 0
		.amdhsa_exception_fp_ieee_underflow 0
		.amdhsa_exception_fp_ieee_inexact 0
		.amdhsa_exception_int_div_zero 0
	.end_amdhsa_kernel
	.text
.Lfunc_end0:
	.size	_Z2mdPK7box_strPK11FOUR_VECTORPKfPS2_fi, .Lfunc_end0-_Z2mdPK7box_strPK11FOUR_VECTORPKfPS2_fi
                                        ; -- End function
	.set _Z2mdPK7box_strPK11FOUR_VECTORPKfPS2_fi.num_vgpr, 59
	.set _Z2mdPK7box_strPK11FOUR_VECTORPKfPS2_fi.num_agpr, 0
	.set _Z2mdPK7box_strPK11FOUR_VECTORPKfPS2_fi.numbered_sgpr, 20
	.set _Z2mdPK7box_strPK11FOUR_VECTORPKfPS2_fi.num_named_barrier, 0
	.set _Z2mdPK7box_strPK11FOUR_VECTORPKfPS2_fi.private_seg_size, 0
	.set _Z2mdPK7box_strPK11FOUR_VECTORPKfPS2_fi.uses_vcc, 1
	.set _Z2mdPK7box_strPK11FOUR_VECTORPKfPS2_fi.uses_flat_scratch, 0
	.set _Z2mdPK7box_strPK11FOUR_VECTORPKfPS2_fi.has_dyn_sized_stack, 0
	.set _Z2mdPK7box_strPK11FOUR_VECTORPKfPS2_fi.has_recursion, 0
	.set _Z2mdPK7box_strPK11FOUR_VECTORPKfPS2_fi.has_indirect_call, 0
	.section	.AMDGPU.csdata,"",@progbits
; Kernel info:
; codeLenInByte = 1760
; TotalNumSgprs: 22
; NumVgprs: 59
; ScratchSize: 0
; MemoryBound: 0
; FloatMode: 240
; IeeeMode: 1
; LDSByteSize: 3600 bytes/workgroup (compile time only)
; SGPRBlocks: 0
; VGPRBlocks: 3
; NumSGPRsForWavesPerEU: 22
; NumVGPRsForWavesPerEU: 59
; NamedBarCnt: 0
; Occupancy: 16
; WaveLimiterHint : 1
; COMPUTE_PGM_RSRC2:SCRATCH_EN: 0
; COMPUTE_PGM_RSRC2:USER_SGPR: 2
; COMPUTE_PGM_RSRC2:TRAP_HANDLER: 0
; COMPUTE_PGM_RSRC2:TGID_X_EN: 1
; COMPUTE_PGM_RSRC2:TGID_Y_EN: 0
; COMPUTE_PGM_RSRC2:TGID_Z_EN: 0
; COMPUTE_PGM_RSRC2:TIDIG_COMP_CNT: 0
	.text
	.p2alignl 7, 3214868480
	.fill 96, 4, 3214868480
	.section	.AMDGPU.gpr_maximums,"",@progbits
	.set amdgpu.max_num_vgpr, 0
	.set amdgpu.max_num_agpr, 0
	.set amdgpu.max_num_sgpr, 0
	.text
	.type	__hip_cuid_b53c012bcb3fd70c,@object ; @__hip_cuid_b53c012bcb3fd70c
	.section	.bss,"aw",@nobits
	.globl	__hip_cuid_b53c012bcb3fd70c
__hip_cuid_b53c012bcb3fd70c:
	.byte	0                               ; 0x0
	.size	__hip_cuid_b53c012bcb3fd70c, 1

	.ident	"AMD clang version 22.0.0git (https://github.com/RadeonOpenCompute/llvm-project roc-7.2.4 26084 f58b06dce1f9c15707c5f808fd002e18c2accf7e)"
	.section	".note.GNU-stack","",@progbits
	.addrsig
	.addrsig_sym __hip_cuid_b53c012bcb3fd70c
	.amdgpu_metadata
---
amdhsa.kernels:
  - .args:
      - .address_space:  global
        .offset:         0
        .size:           8
        .value_kind:     global_buffer
      - .address_space:  global
        .offset:         8
        .size:           8
        .value_kind:     global_buffer
      - .address_space:  global
        .offset:         16
        .size:           8
        .value_kind:     global_buffer
      - .address_space:  global
        .offset:         24
        .size:           8
        .value_kind:     global_buffer
      - .offset:         32
        .size:           4
        .value_kind:     by_value
      - .offset:         36
        .size:           4
        .value_kind:     by_value
    .group_segment_fixed_size: 3600
    .kernarg_segment_align: 8
    .kernarg_segment_size: 40
    .language:       OpenCL C
    .language_version:
      - 2
      - 0
    .max_flat_workgroup_size: 1024
    .name:           _Z2mdPK7box_strPK11FOUR_VECTORPKfPS2_fi
    .private_segment_fixed_size: 0
    .sgpr_count:     22
    .sgpr_spill_count: 0
    .symbol:         _Z2mdPK7box_strPK11FOUR_VECTORPKfPS2_fi.kd
    .uniform_work_group_size: 1
    .uses_dynamic_stack: false
    .vgpr_count:     59
    .vgpr_spill_count: 0
    .wavefront_size: 32
amdhsa.target:   amdgcn-amd-amdhsa--gfx1250
amdhsa.version:
  - 1
  - 2
...

	.end_amdgpu_metadata
